;; amdgpu-corpus repo=ROCm/rocFFT kind=compiled arch=gfx1201 opt=O3
	.text
	.amdgcn_target "amdgcn-amd-amdhsa--gfx1201"
	.amdhsa_code_object_version 6
	.protected	fft_rtc_fwd_len800_factors_16_5_10_wgs_160_tpt_160_halfLds_half_ip_CI_sbrr_dirReg ; -- Begin function fft_rtc_fwd_len800_factors_16_5_10_wgs_160_tpt_160_halfLds_half_ip_CI_sbrr_dirReg
	.globl	fft_rtc_fwd_len800_factors_16_5_10_wgs_160_tpt_160_halfLds_half_ip_CI_sbrr_dirReg
	.p2align	8
	.type	fft_rtc_fwd_len800_factors_16_5_10_wgs_160_tpt_160_halfLds_half_ip_CI_sbrr_dirReg,@function
fft_rtc_fwd_len800_factors_16_5_10_wgs_160_tpt_160_halfLds_half_ip_CI_sbrr_dirReg: ; @fft_rtc_fwd_len800_factors_16_5_10_wgs_160_tpt_160_halfLds_half_ip_CI_sbrr_dirReg
; %bb.0:
	s_clause 0x2
	s_load_b64 s[12:13], s[0:1], 0x18
	s_load_b128 s[4:7], s[0:1], 0x0
	s_load_b64 s[10:11], s[0:1], 0x50
	v_mul_u32_u24_e32 v1, 0x19a, v0
	v_mov_b32_e32 v3, 0
	s_delay_alu instid0(VALU_DEP_2) | instskip(NEXT) | instid1(VALU_DEP_1)
	v_lshrrev_b32_e32 v1, 16, v1
	v_add_nc_u32_e32 v5, ttmp9, v1
	v_mov_b32_e32 v1, 0
	v_mov_b32_e32 v2, 0
	;; [unrolled: 1-line block ×3, first 2 shown]
	s_wait_kmcnt 0x0
	s_load_b64 s[8:9], s[12:13], 0x0
	v_cmp_lt_u64_e64 s2, s[6:7], 2
	s_delay_alu instid0(VALU_DEP_1)
	s_and_b32 vcc_lo, exec_lo, s2
	s_cbranch_vccnz .LBB0_8
; %bb.1:
	s_load_b64 s[2:3], s[0:1], 0x10
	v_mov_b32_e32 v1, 0
	v_mov_b32_e32 v2, 0
	s_add_nc_u64 s[14:15], s[12:13], 8
	s_mov_b64 s[16:17], 1
	s_wait_kmcnt 0x0
	s_add_nc_u64 s[18:19], s[2:3], 8
	s_mov_b32 s3, 0
.LBB0_2:                                ; =>This Inner Loop Header: Depth=1
	s_load_b64 s[20:21], s[18:19], 0x0
                                        ; implicit-def: $vgpr7_vgpr8
	s_mov_b32 s2, exec_lo
	s_wait_kmcnt 0x0
	v_or_b32_e32 v4, s21, v6
	s_delay_alu instid0(VALU_DEP_1)
	v_cmpx_ne_u64_e32 0, v[3:4]
	s_wait_alu 0xfffe
	s_xor_b32 s22, exec_lo, s2
	s_cbranch_execz .LBB0_4
; %bb.3:                                ;   in Loop: Header=BB0_2 Depth=1
	s_cvt_f32_u32 s2, s20
	s_cvt_f32_u32 s23, s21
	s_sub_nc_u64 s[26:27], 0, s[20:21]
	s_wait_alu 0xfffe
	s_delay_alu instid0(SALU_CYCLE_1) | instskip(SKIP_1) | instid1(SALU_CYCLE_2)
	s_fmamk_f32 s2, s23, 0x4f800000, s2
	s_wait_alu 0xfffe
	v_s_rcp_f32 s2, s2
	s_delay_alu instid0(TRANS32_DEP_1) | instskip(SKIP_1) | instid1(SALU_CYCLE_2)
	s_mul_f32 s2, s2, 0x5f7ffffc
	s_wait_alu 0xfffe
	s_mul_f32 s23, s2, 0x2f800000
	s_wait_alu 0xfffe
	s_delay_alu instid0(SALU_CYCLE_2) | instskip(SKIP_1) | instid1(SALU_CYCLE_2)
	s_trunc_f32 s23, s23
	s_wait_alu 0xfffe
	s_fmamk_f32 s2, s23, 0xcf800000, s2
	s_cvt_u32_f32 s25, s23
	s_wait_alu 0xfffe
	s_delay_alu instid0(SALU_CYCLE_1) | instskip(SKIP_1) | instid1(SALU_CYCLE_2)
	s_cvt_u32_f32 s24, s2
	s_wait_alu 0xfffe
	s_mul_u64 s[28:29], s[26:27], s[24:25]
	s_wait_alu 0xfffe
	s_mul_hi_u32 s31, s24, s29
	s_mul_i32 s30, s24, s29
	s_mul_hi_u32 s2, s24, s28
	s_mul_i32 s33, s25, s28
	s_wait_alu 0xfffe
	s_add_nc_u64 s[30:31], s[2:3], s[30:31]
	s_mul_hi_u32 s23, s25, s28
	s_mul_hi_u32 s34, s25, s29
	s_add_co_u32 s2, s30, s33
	s_wait_alu 0xfffe
	s_add_co_ci_u32 s2, s31, s23
	s_mul_i32 s28, s25, s29
	s_add_co_ci_u32 s29, s34, 0
	s_wait_alu 0xfffe
	s_add_nc_u64 s[28:29], s[2:3], s[28:29]
	s_wait_alu 0xfffe
	v_add_co_u32 v4, s2, s24, s28
	s_delay_alu instid0(VALU_DEP_1) | instskip(SKIP_1) | instid1(VALU_DEP_1)
	s_cmp_lg_u32 s2, 0
	s_add_co_ci_u32 s25, s25, s29
	v_readfirstlane_b32 s24, v4
	s_wait_alu 0xfffe
	s_delay_alu instid0(VALU_DEP_1)
	s_mul_u64 s[26:27], s[26:27], s[24:25]
	s_wait_alu 0xfffe
	s_mul_hi_u32 s29, s24, s27
	s_mul_i32 s28, s24, s27
	s_mul_hi_u32 s2, s24, s26
	s_mul_i32 s30, s25, s26
	s_wait_alu 0xfffe
	s_add_nc_u64 s[28:29], s[2:3], s[28:29]
	s_mul_hi_u32 s23, s25, s26
	s_mul_hi_u32 s24, s25, s27
	s_wait_alu 0xfffe
	s_add_co_u32 s2, s28, s30
	s_add_co_ci_u32 s2, s29, s23
	s_mul_i32 s26, s25, s27
	s_add_co_ci_u32 s27, s24, 0
	s_wait_alu 0xfffe
	s_add_nc_u64 s[26:27], s[2:3], s[26:27]
	s_wait_alu 0xfffe
	v_add_co_u32 v4, s2, v4, s26
	s_delay_alu instid0(VALU_DEP_1) | instskip(SKIP_1) | instid1(VALU_DEP_1)
	s_cmp_lg_u32 s2, 0
	s_add_co_ci_u32 s2, s25, s27
	v_mul_hi_u32 v13, v5, v4
	s_wait_alu 0xfffe
	v_mad_co_u64_u32 v[7:8], null, v5, s2, 0
	v_mad_co_u64_u32 v[9:10], null, v6, v4, 0
	;; [unrolled: 1-line block ×3, first 2 shown]
	s_delay_alu instid0(VALU_DEP_3) | instskip(SKIP_1) | instid1(VALU_DEP_4)
	v_add_co_u32 v4, vcc_lo, v13, v7
	s_wait_alu 0xfffd
	v_add_co_ci_u32_e32 v7, vcc_lo, 0, v8, vcc_lo
	s_delay_alu instid0(VALU_DEP_2) | instskip(SKIP_1) | instid1(VALU_DEP_2)
	v_add_co_u32 v4, vcc_lo, v4, v9
	s_wait_alu 0xfffd
	v_add_co_ci_u32_e32 v4, vcc_lo, v7, v10, vcc_lo
	s_wait_alu 0xfffd
	v_add_co_ci_u32_e32 v7, vcc_lo, 0, v12, vcc_lo
	s_delay_alu instid0(VALU_DEP_2) | instskip(SKIP_1) | instid1(VALU_DEP_2)
	v_add_co_u32 v4, vcc_lo, v4, v11
	s_wait_alu 0xfffd
	v_add_co_ci_u32_e32 v9, vcc_lo, 0, v7, vcc_lo
	s_delay_alu instid0(VALU_DEP_2) | instskip(SKIP_1) | instid1(VALU_DEP_3)
	v_mul_lo_u32 v10, s21, v4
	v_mad_co_u64_u32 v[7:8], null, s20, v4, 0
	v_mul_lo_u32 v11, s20, v9
	s_delay_alu instid0(VALU_DEP_2) | instskip(NEXT) | instid1(VALU_DEP_2)
	v_sub_co_u32 v7, vcc_lo, v5, v7
	v_add3_u32 v8, v8, v11, v10
	s_delay_alu instid0(VALU_DEP_1) | instskip(SKIP_1) | instid1(VALU_DEP_1)
	v_sub_nc_u32_e32 v10, v6, v8
	s_wait_alu 0xfffd
	v_subrev_co_ci_u32_e64 v10, s2, s21, v10, vcc_lo
	v_add_co_u32 v11, s2, v4, 2
	s_wait_alu 0xf1ff
	v_add_co_ci_u32_e64 v12, s2, 0, v9, s2
	v_sub_co_u32 v13, s2, v7, s20
	v_sub_co_ci_u32_e32 v8, vcc_lo, v6, v8, vcc_lo
	s_wait_alu 0xf1ff
	v_subrev_co_ci_u32_e64 v10, s2, 0, v10, s2
	s_delay_alu instid0(VALU_DEP_3) | instskip(NEXT) | instid1(VALU_DEP_3)
	v_cmp_le_u32_e32 vcc_lo, s20, v13
	v_cmp_eq_u32_e64 s2, s21, v8
	s_wait_alu 0xfffd
	v_cndmask_b32_e64 v13, 0, -1, vcc_lo
	v_cmp_le_u32_e32 vcc_lo, s21, v10
	s_wait_alu 0xfffd
	v_cndmask_b32_e64 v14, 0, -1, vcc_lo
	v_cmp_le_u32_e32 vcc_lo, s20, v7
	;; [unrolled: 3-line block ×3, first 2 shown]
	s_wait_alu 0xfffd
	v_cndmask_b32_e64 v15, 0, -1, vcc_lo
	v_cmp_eq_u32_e32 vcc_lo, s21, v10
	s_wait_alu 0xf1ff
	s_delay_alu instid0(VALU_DEP_2)
	v_cndmask_b32_e64 v7, v15, v7, s2
	s_wait_alu 0xfffd
	v_cndmask_b32_e32 v10, v14, v13, vcc_lo
	v_add_co_u32 v13, vcc_lo, v4, 1
	s_wait_alu 0xfffd
	v_add_co_ci_u32_e32 v14, vcc_lo, 0, v9, vcc_lo
	s_delay_alu instid0(VALU_DEP_3) | instskip(SKIP_2) | instid1(VALU_DEP_3)
	v_cmp_ne_u32_e32 vcc_lo, 0, v10
	s_wait_alu 0xfffd
	v_cndmask_b32_e32 v10, v13, v11, vcc_lo
	v_cndmask_b32_e32 v8, v14, v12, vcc_lo
	v_cmp_ne_u32_e32 vcc_lo, 0, v7
	s_wait_alu 0xfffd
	s_delay_alu instid0(VALU_DEP_2)
	v_dual_cndmask_b32 v7, v4, v10 :: v_dual_cndmask_b32 v8, v9, v8
.LBB0_4:                                ;   in Loop: Header=BB0_2 Depth=1
	s_wait_alu 0xfffe
	s_and_not1_saveexec_b32 s2, s22
	s_cbranch_execz .LBB0_6
; %bb.5:                                ;   in Loop: Header=BB0_2 Depth=1
	v_cvt_f32_u32_e32 v4, s20
	s_sub_co_i32 s22, 0, s20
	s_delay_alu instid0(VALU_DEP_1) | instskip(NEXT) | instid1(TRANS32_DEP_1)
	v_rcp_iflag_f32_e32 v4, v4
	v_mul_f32_e32 v4, 0x4f7ffffe, v4
	s_delay_alu instid0(VALU_DEP_1) | instskip(SKIP_1) | instid1(VALU_DEP_1)
	v_cvt_u32_f32_e32 v4, v4
	s_wait_alu 0xfffe
	v_mul_lo_u32 v7, s22, v4
	s_delay_alu instid0(VALU_DEP_1) | instskip(NEXT) | instid1(VALU_DEP_1)
	v_mul_hi_u32 v7, v4, v7
	v_add_nc_u32_e32 v4, v4, v7
	s_delay_alu instid0(VALU_DEP_1) | instskip(NEXT) | instid1(VALU_DEP_1)
	v_mul_hi_u32 v4, v5, v4
	v_mul_lo_u32 v7, v4, s20
	v_add_nc_u32_e32 v8, 1, v4
	s_delay_alu instid0(VALU_DEP_2) | instskip(NEXT) | instid1(VALU_DEP_1)
	v_sub_nc_u32_e32 v7, v5, v7
	v_subrev_nc_u32_e32 v9, s20, v7
	v_cmp_le_u32_e32 vcc_lo, s20, v7
	s_wait_alu 0xfffd
	s_delay_alu instid0(VALU_DEP_2) | instskip(NEXT) | instid1(VALU_DEP_1)
	v_dual_cndmask_b32 v7, v7, v9 :: v_dual_cndmask_b32 v4, v4, v8
	v_cmp_le_u32_e32 vcc_lo, s20, v7
	s_delay_alu instid0(VALU_DEP_2) | instskip(SKIP_1) | instid1(VALU_DEP_1)
	v_add_nc_u32_e32 v8, 1, v4
	s_wait_alu 0xfffd
	v_dual_cndmask_b32 v7, v4, v8 :: v_dual_mov_b32 v8, v3
.LBB0_6:                                ;   in Loop: Header=BB0_2 Depth=1
	s_wait_alu 0xfffe
	s_or_b32 exec_lo, exec_lo, s2
	s_load_b64 s[22:23], s[14:15], 0x0
	s_delay_alu instid0(VALU_DEP_1)
	v_mul_lo_u32 v4, v8, s20
	v_mul_lo_u32 v11, v7, s21
	v_mad_co_u64_u32 v[9:10], null, v7, s20, 0
	s_add_nc_u64 s[16:17], s[16:17], 1
	s_add_nc_u64 s[14:15], s[14:15], 8
	s_wait_alu 0xfffe
	v_cmp_ge_u64_e64 s2, s[16:17], s[6:7]
	s_add_nc_u64 s[18:19], s[18:19], 8
	s_delay_alu instid0(VALU_DEP_2) | instskip(NEXT) | instid1(VALU_DEP_3)
	v_add3_u32 v4, v10, v11, v4
	v_sub_co_u32 v5, vcc_lo, v5, v9
	s_wait_alu 0xfffd
	s_delay_alu instid0(VALU_DEP_2) | instskip(SKIP_3) | instid1(VALU_DEP_2)
	v_sub_co_ci_u32_e32 v4, vcc_lo, v6, v4, vcc_lo
	s_and_b32 vcc_lo, exec_lo, s2
	s_wait_kmcnt 0x0
	v_mul_lo_u32 v6, s23, v5
	v_mul_lo_u32 v4, s22, v4
	v_mad_co_u64_u32 v[1:2], null, s22, v5, v[1:2]
	s_delay_alu instid0(VALU_DEP_1)
	v_add3_u32 v2, v6, v2, v4
	s_wait_alu 0xfffe
	s_cbranch_vccnz .LBB0_9
; %bb.7:                                ;   in Loop: Header=BB0_2 Depth=1
	v_dual_mov_b32 v5, v7 :: v_dual_mov_b32 v6, v8
	s_branch .LBB0_2
.LBB0_8:
	v_dual_mov_b32 v8, v6 :: v_dual_mov_b32 v7, v5
.LBB0_9:
	s_lshl_b64 s[2:3], s[6:7], 3
	v_mul_hi_u32 v3, 0x199999a, v0
	s_wait_alu 0xfffe
	s_add_nc_u64 s[2:3], s[12:13], s[2:3]
	v_dual_mov_b32 v9, 0 :: v_dual_mov_b32 v20, 0
	s_load_b64 s[2:3], s[2:3], 0x0
	s_load_b64 s[6:7], s[0:1], 0x20
	v_dual_mov_b32 v13, 0 :: v_dual_mov_b32 v22, 0
	v_dual_mov_b32 v5, 0 :: v_dual_mov_b32 v14, 0
	v_mul_u32_u24_e32 v3, 0xa0, v3
	v_dual_mov_b32 v19, 0 :: v_dual_mov_b32 v4, 0
	v_dual_mov_b32 v10, 0 :: v_dual_mov_b32 v15, 0
	;; [unrolled: 1-line block ×4, first 2 shown]
                                        ; implicit-def: $vgpr30
                                        ; implicit-def: $vgpr24
                                        ; implicit-def: $vgpr34
                                        ; implicit-def: $vgpr29
                                        ; implicit-def: $vgpr28
                                        ; implicit-def: $vgpr23
                                        ; implicit-def: $vgpr33
                                        ; implicit-def: $vgpr27
                                        ; implicit-def: $vgpr35
                                        ; implicit-def: $vgpr32
                                        ; implicit-def: $vgpr31
                                        ; implicit-def: $vgpr26
	s_wait_kmcnt 0x0
	v_mul_lo_u32 v6, s2, v8
	v_mul_lo_u32 v11, s3, v7
	v_mad_co_u64_u32 v[17:18], null, s2, v7, v[1:2]
	v_sub_nc_u32_e32 v2, v0, v3
	v_cmp_gt_u64_e32 vcc_lo, s[6:7], v[7:8]
	v_mov_b32_e32 v8, 0
                                        ; implicit-def: $vgpr7
	s_delay_alu instid0(VALU_DEP_3) | instskip(SKIP_2) | instid1(VALU_DEP_3)
	v_cmp_gt_u32_e64 s0, 50, v2
	v_add3_u32 v18, v11, v18, v6
	v_dual_mov_b32 v6, 0 :: v_dual_add_nc_u32 v3, 0x190, v2
                                        ; implicit-def: $vgpr11
	s_and_b32 s1, vcc_lo, s0
	s_delay_alu instid0(VALU_DEP_2)
	v_lshlrev_b64_e32 v[0:1], 2, v[17:18]
                                        ; implicit-def: $vgpr18
                                        ; implicit-def: $vgpr17
	s_wait_alu 0xfffe
	s_and_saveexec_b32 s2, s1
	s_cbranch_execz .LBB0_11
; %bb.10:
	v_add_nc_u32_e32 v11, 50, v2
	v_mad_co_u64_u32 v[4:5], null, s8, v2, 0
	v_add_co_u32 v34, s1, s10, v0
	s_delay_alu instid0(VALU_DEP_3) | instskip(SKIP_2) | instid1(VALU_DEP_2)
	v_mad_co_u64_u32 v[6:7], null, s8, v11, 0
	s_wait_alu 0xf1ff
	v_add_co_ci_u32_e64 v35, s1, s11, v1, s1
	v_mad_co_u64_u32 v[8:9], null, s9, v2, v[5:6]
	s_delay_alu instid0(VALU_DEP_1) | instskip(NEXT) | instid1(VALU_DEP_4)
	v_dual_mov_b32 v5, v8 :: v_dual_add_nc_u32 v14, 0x64, v2
	v_mad_co_u64_u32 v[11:12], null, s9, v11, v[7:8]
	s_delay_alu instid0(VALU_DEP_2) | instskip(SKIP_1) | instid1(VALU_DEP_4)
	v_mad_co_u64_u32 v[9:10], null, s8, v14, 0
	v_add_nc_u32_e32 v16, 0x96, v2
	v_lshlrev_b64_e32 v[4:5], 2, v[4:5]
	s_delay_alu instid0(VALU_DEP_4) | instskip(NEXT) | instid1(VALU_DEP_3)
	v_mov_b32_e32 v7, v11
	v_mad_co_u64_u32 v[12:13], null, s8, v16, 0
	v_mov_b32_e32 v8, v10
	s_delay_alu instid0(VALU_DEP_4) | instskip(NEXT) | instid1(VALU_DEP_4)
	v_add_co_u32 v4, s1, v34, v4
	v_lshlrev_b64_e32 v[6:7], 2, v[6:7]
	s_wait_alu 0xf1ff
	v_add_co_ci_u32_e64 v5, s1, v35, v5, s1
	v_mad_co_u64_u32 v[10:11], null, s9, v14, v[8:9]
	v_dual_mov_b32 v8, v13 :: v_dual_add_nc_u32 v11, 0xc8, v2
	s_delay_alu instid0(VALU_DEP_4) | instskip(SKIP_2) | instid1(VALU_DEP_3)
	v_add_co_u32 v6, s1, v34, v6
	s_wait_alu 0xf1ff
	v_add_co_ci_u32_e64 v7, s1, v35, v7, s1
	v_mad_co_u64_u32 v[14:15], null, s8, v11, 0
	v_mad_co_u64_u32 v[16:17], null, s9, v16, v[8:9]
	v_add_nc_u32_e32 v20, 0xfa, v2
	v_lshlrev_b64_e32 v[8:9], 2, v[9:10]
	s_delay_alu instid0(VALU_DEP_3) | instskip(NEXT) | instid1(VALU_DEP_3)
	v_mov_b32_e32 v13, v16
	v_mad_co_u64_u32 v[16:17], null, s8, v20, 0
	v_mov_b32_e32 v10, v15
	s_delay_alu instid0(VALU_DEP_4) | instskip(SKIP_2) | instid1(VALU_DEP_3)
	v_add_co_u32 v8, s1, v34, v8
	s_wait_alu 0xf1ff
	v_add_co_ci_u32_e64 v9, s1, v35, v9, s1
	v_mad_co_u64_u32 v[10:11], null, s9, v11, v[10:11]
	v_add_nc_u32_e32 v22, 0x12c, v2
	v_lshlrev_b64_e32 v[11:12], 2, v[12:13]
	v_mov_b32_e32 v13, v17
	s_delay_alu instid0(VALU_DEP_4) | instskip(NEXT) | instid1(VALU_DEP_4)
	v_mov_b32_e32 v15, v10
	v_mad_co_u64_u32 v[18:19], null, s8, v22, 0
	s_delay_alu instid0(VALU_DEP_3)
	v_mad_co_u64_u32 v[20:21], null, s9, v20, v[13:14]
	v_add_nc_u32_e32 v24, 0x15e, v2
	v_add_co_u32 v10, s1, v34, v11
	s_wait_alu 0xf1ff
	v_add_co_ci_u32_e64 v11, s1, v35, v12, s1
	v_lshlrev_b64_e32 v[12:13], 2, v[14:15]
	v_mov_b32_e32 v17, v20
	v_mad_co_u64_u32 v[20:21], null, s8, v24, 0
	v_mov_b32_e32 v14, v19
	s_delay_alu instid0(VALU_DEP_1) | instskip(NEXT) | instid1(VALU_DEP_3)
	v_mad_co_u64_u32 v[14:15], null, s9, v22, v[14:15]
	v_mov_b32_e32 v15, v21
	v_add_co_u32 v22, s1, v34, v12
	s_wait_alu 0xf1ff
	v_add_co_ci_u32_e64 v23, s1, v35, v13, s1
	v_lshlrev_b64_e32 v[12:13], 2, v[16:17]
	v_mad_co_u64_u32 v[16:17], null, s8, v3, 0
	v_mov_b32_e32 v19, v14
	s_delay_alu instid0(VALU_DEP_2) | instskip(NEXT) | instid1(VALU_DEP_4)
	v_mad_co_u64_u32 v[14:15], null, s9, v24, v[15:16]
	v_add_co_u32 v24, s1, v34, v12
	s_delay_alu instid0(VALU_DEP_4) | instskip(SKIP_2) | instid1(VALU_DEP_4)
	v_mov_b32_e32 v12, v17
	s_wait_alu 0xf1ff
	v_add_co_ci_u32_e64 v25, s1, v35, v13, s1
	v_dual_mov_b32 v21, v14 :: v_dual_add_nc_u32 v30, 0x1c2, v2
	s_delay_alu instid0(VALU_DEP_3) | instskip(SKIP_1) | instid1(VALU_DEP_3)
	v_mad_co_u64_u32 v[12:13], null, s9, v3, v[12:13]
	v_lshlrev_b64_e32 v[17:18], 2, v[18:19]
	v_mad_co_u64_u32 v[26:27], null, s8, v30, 0
	v_add_nc_u32_e32 v36, 0x1f4, v2
	s_delay_alu instid0(VALU_DEP_3)
	v_add_co_u32 v28, s1, v34, v17
	v_mov_b32_e32 v17, v12
	s_wait_alu 0xf1ff
	v_add_co_ci_u32_e64 v29, s1, v35, v18, s1
	v_mov_b32_e32 v14, v27
	v_mad_co_u64_u32 v[18:19], null, s8, v36, 0
	v_lshlrev_b64_e32 v[15:16], 2, v[16:17]
	v_add_nc_u32_e32 v17, 0x226, v2
	v_lshlrev_b64_e32 v[12:13], 2, v[20:21]
	s_delay_alu instid0(VALU_DEP_3) | instskip(NEXT) | instid1(VALU_DEP_2)
	v_mad_co_u64_u32 v[20:21], null, s9, v30, v[14:15]
	v_add_co_u32 v30, s1, v34, v12
	v_mov_b32_e32 v12, v19
	s_wait_alu 0xf1ff
	s_delay_alu instid0(VALU_DEP_4)
	v_add_co_ci_u32_e64 v31, s1, v35, v13, s1
	v_add_co_u32 v32, s1, v34, v15
	v_mov_b32_e32 v27, v20
	s_wait_alu 0xf1ff
	v_add_co_ci_u32_e64 v33, s1, v35, v16, s1
	v_mad_co_u64_u32 v[19:20], null, s9, v36, v[12:13]
	s_clause 0x8
	global_load_b32 v13, v[4:5], off
	global_load_b32 v5, v[6:7], off
	;; [unrolled: 1-line block ×9, first 2 shown]
	v_mad_co_u64_u32 v[20:21], null, s8, v17, 0
	v_lshlrev_b64_e32 v[8:9], 2, v[26:27]
	v_add_nc_u32_e32 v26, 0x258, v2
	v_add_nc_u32_e32 v31, 0x2bc, v2
	;; [unrolled: 1-line block ×3, first 2 shown]
	v_mov_b32_e32 v10, v21
	s_delay_alu instid0(VALU_DEP_4) | instskip(SKIP_1) | instid1(VALU_DEP_3)
	v_mad_co_u64_u32 v[22:23], null, s8, v26, 0
	v_add_co_u32 v8, s1, v34, v8
	v_mad_co_u64_u32 v[10:11], null, s9, v17, v[10:11]
	v_add_nc_u32_e32 v28, 0x28a, v2
	v_lshlrev_b64_e32 v[17:18], 2, v[18:19]
	v_mov_b32_e32 v11, v23
	s_wait_alu 0xf1ff
	v_add_co_ci_u32_e64 v9, s1, v35, v9, s1
	v_mov_b32_e32 v21, v10
	v_mad_co_u64_u32 v[24:25], null, s8, v28, 0
	v_add_co_u32 v17, s1, v34, v17
	s_delay_alu instid0(VALU_DEP_3) | instskip(SKIP_2) | instid1(VALU_DEP_2)
	v_lshlrev_b64_e32 v[19:20], 2, v[20:21]
	s_wait_alu 0xf1ff
	v_add_co_ci_u32_e64 v18, s1, v35, v18, s1
	v_add_co_u32 v19, s1, v34, v19
	s_wait_alu 0xf1ff
	s_delay_alu instid0(VALU_DEP_3) | instskip(SKIP_4) | instid1(VALU_DEP_3)
	v_add_co_ci_u32_e64 v20, s1, v35, v20, s1
	s_wait_loadcnt 0x3
	v_mad_co_u64_u32 v[10:11], null, s9, v26, v[11:12]
	v_mad_co_u64_u32 v[26:27], null, s8, v31, 0
	v_mov_b32_e32 v11, v25
	v_mov_b32_e32 v23, v10
	s_delay_alu instid0(VALU_DEP_2) | instskip(SKIP_2) | instid1(VALU_DEP_4)
	v_mad_co_u64_u32 v[28:29], null, s9, v28, v[11:12]
	v_mad_co_u64_u32 v[29:30], null, s8, v32, 0
	v_mov_b32_e32 v11, v27
	v_lshlrev_b64_e32 v[21:22], 2, v[22:23]
	s_delay_alu instid0(VALU_DEP_4) | instskip(NEXT) | instid1(VALU_DEP_3)
	v_mov_b32_e32 v25, v28
	v_mad_co_u64_u32 v[10:11], null, s9, v31, v[11:12]
	v_mov_b32_e32 v11, v30
	s_delay_alu instid0(VALU_DEP_3) | instskip(NEXT) | instid1(VALU_DEP_2)
	v_lshlrev_b64_e32 v[23:24], 2, v[24:25]
	v_mad_co_u64_u32 v[30:31], null, s9, v32, v[11:12]
	s_delay_alu instid0(VALU_DEP_4) | instskip(SKIP_3) | instid1(VALU_DEP_3)
	v_mov_b32_e32 v27, v10
	v_add_co_u32 v10, s1, v34, v21
	s_wait_alu 0xf1ff
	v_add_co_ci_u32_e64 v11, s1, v35, v22, s1
	v_lshlrev_b64_e32 v[21:22], 2, v[26:27]
	v_add_co_u32 v25, s1, v34, v23
	s_wait_alu 0xf1ff
	v_add_co_ci_u32_e64 v26, s1, v35, v24, s1
	v_lshlrev_b64_e32 v[23:24], 2, v[29:30]
	s_delay_alu instid0(VALU_DEP_4) | instskip(SKIP_2) | instid1(VALU_DEP_3)
	v_add_co_u32 v21, s1, v34, v21
	s_wait_alu 0xf1ff
	v_add_co_ci_u32_e64 v22, s1, v35, v22, s1
	v_add_co_u32 v30, s1, v34, v23
	s_wait_alu 0xf1ff
	v_add_co_ci_u32_e64 v31, s1, v35, v24, s1
	s_clause 0x6
	global_load_b32 v24, v[8:9], off
	global_load_b32 v29, v[17:18], off
	;; [unrolled: 1-line block ×7, first 2 shown]
	v_lshrrev_b32_e32 v9, 16, v13
	s_wait_loadcnt 0x7
	v_lshrrev_b32_e32 v11, 16, v7
	v_lshrrev_b32_e32 v20, 16, v5
	;; [unrolled: 1-line block ×8, first 2 shown]
	s_wait_loadcnt 0x6
	v_lshrrev_b32_e32 v30, 16, v24
	s_wait_loadcnt 0x5
	v_lshrrev_b32_e32 v34, 16, v29
	;; [unrolled: 2-line block ×7, first 2 shown]
.LBB0_11:
	s_wait_alu 0xfffe
	s_or_b32 exec_lo, exec_lo, s2
	v_sub_f16_e32 v7, v13, v7
	v_sub_f16_e32 v29, v14, v29
	;; [unrolled: 1-line block ×6, first 2 shown]
	v_fma_f16 v37, v13, 2.0, -v7
	v_fma_f16 v14, v14, 2.0, -v29
	;; [unrolled: 1-line block ×4, first 2 shown]
	v_sub_f16_e32 v24, v5, v24
	v_sub_f16_e32 v30, v20, v30
	v_fma_f16 v22, v25, 2.0, -v35
	v_sub_f16_e32 v25, v12, v27
	v_sub_f16_e32 v27, v21, v33
	;; [unrolled: 1-line block ×5, first 2 shown]
	v_add_f16_e32 v32, v36, v32
	v_sub_f16_e32 v17, v15, v17
	v_fma_f16 v20, v20, 2.0, -v30
	v_fma_f16 v38, v12, 2.0, -v25
	;; [unrolled: 1-line block ×3, first 2 shown]
	v_sub_f16_e32 v28, v19, v28
	v_sub_f16_e32 v26, v6, v26
	;; [unrolled: 1-line block ×3, first 2 shown]
	v_fma_f16 v8, v8, 2.0, -v31
	v_sub_f16_e32 v12, v14, v16
	v_fma_f16 v16, v29, 2.0, -v35
	v_fma_f16 v29, v36, 2.0, -v32
	v_sub_f16_e32 v36, v24, v27
	v_sub_f16_e32 v31, v23, v31
	v_fma_f16 v15, v15, 2.0, -v17
	v_fma_f16 v4, v4, 2.0, -v23
	v_fma_f16 v6, v6, 2.0, -v26
	v_fma_f16 v7, v7, 2.0, -v34
	v_sub_f16_e32 v21, v20, v21
	v_add_f16_e32 v43, v30, v25
	v_fma_f16 v27, v24, 2.0, -v36
	v_add_f16_e32 v26, v28, v26
	v_fma_f16 v23, v23, 2.0, -v31
	v_sub_f16_e32 v33, v37, v15
	v_fma_f16 v15, v19, 2.0, -v28
	v_sub_f16_e32 v19, v13, v22
	v_fma_f16 v22, v20, 2.0, -v21
	v_fma_f16 v30, v30, 2.0, -v43
	v_fmamk_f16 v46, v16, 0xb9a8, v7
	v_fma_f16 v45, v28, 2.0, -v26
	v_mul_f16_e32 v20, 0x39a8, v16
	v_fmamk_f16 v16, v23, 0xb9a8, v27
	v_fma_f16 v5, v5, 2.0, -v24
	v_sub_f16_e32 v6, v4, v6
	v_fmamk_f16 v25, v45, 0xb9a8, v30
	v_sub_f16_e32 v8, v15, v8
	v_fmac_f16_e32 v16, 0xb9a8, v45
	v_sub_f16_e32 v38, v5, v38
	v_fmac_f16_e32 v46, 0xb9a8, v29
	v_mul_f16_e32 v24, 0x39a8, v29
	v_fmamk_f16 v42, v35, 0x39a8, v34
	v_fmac_f16_e32 v25, 0x39a8, v23
	v_fma_f16 v23, v27, 2.0, -v16
	v_fmamk_f16 v27, v31, 0x39a8, v36
	v_fmamk_f16 v29, v26, 0x39a8, v43
	v_fma_f16 v39, v37, 2.0, -v33
	v_fma_f16 v14, v14, 2.0, -v12
	;; [unrolled: 1-line block ×6, first 2 shown]
	v_sub_f16_e32 v41, v33, v19
	v_fmac_f16_e32 v42, 0xb9a8, v32
	v_sub_f16_e32 v7, v38, v8
	v_fmac_f16_e32 v27, 0xb9a8, v26
	v_fmac_f16_e32 v29, 0x39a8, v31
	v_sub_f16_e32 v37, v39, v14
	v_mul_f16_e32 v14, 0x39a8, v35
	v_sub_f16_e32 v15, v5, v4
	v_sub_f16_e32 v35, v22, v44
	v_add_f16_e32 v8, v21, v6
	v_fma_f16 v26, v43, 2.0, -v29
	v_fmamk_f16 v43, v16, 0x361f, v46
	v_fmamk_f16 v44, v7, 0x39a8, v41
	v_fmamk_f16 v45, v27, 0x3b64, v42
	v_fma_f16 v39, v39, 2.0, -v37
	v_mul_f16_e32 v28, 0x39a8, v32
	v_fma_f16 v5, v5, 2.0, -v15
	v_fma_f16 v30, v30, 2.0, -v25
	;; [unrolled: 1-line block ×4, first 2 shown]
	v_fmamk_f16 v4, v23, 0xbb64, v40
	v_fmac_f16_e32 v43, 0xbb64, v25
	v_fmac_f16_e32 v44, 0xb9a8, v8
	;; [unrolled: 1-line block ×3, first 2 shown]
	v_fma_f16 v21, v36, 2.0, -v27
	v_sub_f16_e32 v5, v39, v5
	v_fmac_f16_e32 v4, 0xb61f, v30
	v_mul_f16_e32 v31, 0x39a8, v6
	v_mul_f16_e32 v32, 0x39a8, v32
	v_fma_f16 v6, v46, 2.0, -v43
	v_mul_f16_e32 v36, 0x39a8, v7
	v_mul_f16_e32 v38, 0x39a8, v8
	v_fma_f16 v8, v41, 2.0, -v44
	v_fma_f16 v7, v42, 2.0, -v45
	s_and_saveexec_b32 s1, s0
	s_cbranch_execz .LBB0_13
; %bb.12:
	v_fma_f16 v34, v34, 2.0, -v42
	v_fma_f16 v33, v33, 2.0, -v41
	v_sub_f16_e32 v46, v37, v35
	v_fma_f16 v40, v40, 2.0, -v4
	v_fma_f16 v39, v39, 2.0, -v5
	v_fmamk_f16 v41, v21, 0xb61f, v34
	v_sub_f16_e32 v42, v33, v31
	v_fma_f16 v37, v37, 2.0, -v46
	v_lshl_add_u32 v47, v2, 5, 0
	v_pack_b32_f16 v39, v39, v40
	v_fmac_f16_e32 v41, 0xbb64, v26
	v_sub_f16_e32 v42, v42, v32
	v_perm_b32 v48, v7, v8, 0x5040100
	v_perm_b32 v49, v4, v5, 0x5040100
	;; [unrolled: 1-line block ×3, first 2 shown]
	v_fma_f16 v34, v34, 2.0, -v41
	v_fma_f16 v33, v33, 2.0, -v42
	v_perm_b32 v40, v43, v46, 0x5040100
	s_delay_alu instid0(VALU_DEP_2)
	v_pack_b32_f16 v33, v33, v34
	v_perm_b32 v34, v6, v37, 0x5040100
	v_pack_b32_f16 v37, v42, v41
	ds_store_2addr_b32 v47, v39, v33 offset1:1
	ds_store_2addr_b32 v47, v34, v48 offset0:2 offset1:3
	ds_store_2addr_b32 v47, v49, v37 offset0:4 offset1:5
	;; [unrolled: 1-line block ×3, first 2 shown]
.LBB0_13:
	s_wait_alu 0xfffe
	s_or_b32 exec_lo, exec_lo, s1
	v_sub_f16_e32 v11, v9, v11
	v_fma_f16 v10, v10, 2.0, -v18
	v_fma_f16 v40, v22, 2.0, -v35
	;; [unrolled: 1-line block ×3, first 2 shown]
	global_wb scope:SCOPE_SE
	s_wait_dscnt 0x0
	v_add_f16_e32 v33, v11, v17
	v_fma_f16 v9, v9, 2.0, -v11
	s_barrier_signal -1
	s_barrier_wait -1
	global_inv scope:SCOPE_SE
	v_fma_f16 v11, v11, 2.0, -v33
	v_sub_f16_e32 v34, v9, v10
	v_add_f16_e32 v22, v33, v28
	s_delay_alu instid0(VALU_DEP_3) | instskip(SKIP_1) | instid1(VALU_DEP_4)
	v_sub_f16_e32 v10, v11, v24
	v_lshl_add_u32 v24, v2, 1, 0
	v_fma_f16 v41, v9, 2.0, -v34
	v_add_f16_e32 v37, v34, v12
	v_add_f16_e32 v39, v14, v22
	v_add_f16_e32 v42, v20, v10
	ds_load_u16 v9, v24
	ds_load_u16 v20, v24 offset:320
	ds_load_u16 v19, v24 offset:640
	;; [unrolled: 1-line block ×4, first 2 shown]
	v_sub_f16_e32 v28, v41, v13
	global_wb scope:SCOPE_SE
	s_wait_dscnt 0x0
	s_barrier_signal -1
	v_fma_f16 v35, v11, 2.0, -v42
	v_fmamk_f16 v22, v25, 0x361f, v42
	v_add_f16_e32 v11, v37, v38
	v_fmamk_f16 v25, v29, 0x3b64, v39
	v_fma_f16 v29, v41, 2.0, -v28
	v_fmamk_f16 v10, v30, 0xbb64, v35
	v_fmac_f16_e32 v22, 0x3b64, v16
	v_add_f16_e32 v16, v36, v11
	v_fmac_f16_e32 v25, 0x361f, v27
	v_sub_f16_e32 v13, v29, v40
	v_fmac_f16_e32 v10, 0x361f, v23
	v_fma_f16 v11, v42, 2.0, -v22
	v_fma_f16 v14, v37, 2.0, -v16
	;; [unrolled: 1-line block ×3, first 2 shown]
	s_barrier_wait -1
	global_inv scope:SCOPE_SE
	s_and_saveexec_b32 s1, s0
	s_cbranch_execz .LBB0_15
; %bb.14:
	v_fma_f16 v23, v34, 2.0, -v37
	v_fma_f16 v27, v33, 2.0, -v39
	v_add_f16_e32 v15, v28, v15
	v_fma_f16 v29, v29, 2.0, -v13
	v_perm_b32 v16, v25, v16, 0x5040100
	v_sub_f16_e32 v30, v23, v32
	v_fmamk_f16 v26, v26, 0xb61f, v27
	v_fma_f16 v32, v35, 2.0, -v10
	v_fma_f16 v28, v28, 2.0, -v15
	v_perm_b32 v33, v10, v13, 0x5040100
	v_add_f16_e32 v30, v31, v30
	v_fmac_f16_e32 v26, 0x3b64, v21
	v_mad_u32_u24 v21, v2, 30, v24
	v_pack_b32_f16 v25, v29, v32
	v_perm_b32 v31, v12, v14, 0x5040100
	v_fma_f16 v23, v23, 2.0, -v30
	v_fma_f16 v27, v27, 2.0, -v26
	v_pack_b32_f16 v26, v30, v26
	v_perm_b32 v15, v22, v15, 0x5040100
	s_delay_alu instid0(VALU_DEP_3)
	v_pack_b32_f16 v23, v23, v27
	v_perm_b32 v27, v11, v28, 0x5040100
	ds_store_2addr_b32 v21, v25, v23 offset1:1
	ds_store_2addr_b32 v21, v27, v31 offset0:2 offset1:3
	ds_store_2addr_b32 v21, v33, v26 offset0:4 offset1:5
	;; [unrolled: 1-line block ×3, first 2 shown]
.LBB0_15:
	s_wait_alu 0xfffe
	s_or_b32 exec_lo, exec_lo, s1
	v_and_b32_e32 v15, 15, v2
	global_wb scope:SCOPE_SE
	s_wait_dscnt 0x0
	s_barrier_signal -1
	s_barrier_wait -1
	global_inv scope:SCOPE_SE
	v_lshlrev_b32_e32 v16, 4, v15
	ds_load_u16 v21, v24 offset:320
	v_cmp_gt_u32_e64 s0, 0x50, v2
	global_load_b128 v[29:32], v16, s[4:5]
	v_lshrrev_b32_e32 v16, 4, v2
	ds_load_u16 v22, v24 offset:640
	ds_load_u16 v33, v24 offset:960
	;; [unrolled: 1-line block ×3, first 2 shown]
	v_mul_u32_u24_e32 v23, 0x50, v16
	ds_load_u16 v16, v24
	global_wb scope:SCOPE_SE
	s_wait_loadcnt_dscnt 0x0
	s_barrier_signal -1
	s_barrier_wait -1
	v_or_b32_e32 v15, v23, v15
	global_inv scope:SCOPE_SE
	v_lshl_add_u32 v25, v15, 1, 0
	v_lshrrev_b32_e32 v23, 16, v29
	v_lshrrev_b32_e32 v15, 16, v30
	;; [unrolled: 1-line block ×4, first 2 shown]
	s_delay_alu instid0(VALU_DEP_4)
	v_mul_f16_e32 v36, v21, v23
	v_mul_f16_e32 v23, v20, v23
	v_mul_f16_e32 v37, v22, v15
	v_mul_f16_e32 v28, v19, v15
	v_mul_f16_e32 v15, v33, v26
	v_mul_f16_e32 v38, v34, v35
	v_mul_f16_e32 v27, v18, v26
	v_mul_f16_e32 v26, v17, v35
	v_fma_f16 v20, v20, v29, -v36
	v_fmac_f16_e32 v23, v21, v29
	v_fma_f16 v21, v19, v30, -v37
	v_fmac_f16_e32 v28, v22, v30
	v_fma_f16 v22, v18, v31, -v15
	v_fma_f16 v29, v17, v32, -v38
	v_fmac_f16_e32 v26, v34, v32
	v_fmac_f16_e32 v27, v33, v31
	v_add_f16_e32 v15, v9, v20
	v_add_f16_e32 v17, v21, v22
	;; [unrolled: 1-line block ×3, first 2 shown]
	v_sub_f16_e32 v30, v23, v26
	v_sub_f16_e32 v31, v28, v27
	;; [unrolled: 1-line block ×4, first 2 shown]
	v_fma_f16 v18, -0.5, v17, v9
	v_fmac_f16_e32 v9, -0.5, v32
	v_sub_f16_e32 v34, v21, v20
	v_sub_f16_e32 v35, v22, v29
	v_add_f16_e32 v15, v15, v21
	v_add_f16_e32 v32, v19, v33
	v_fmamk_f16 v17, v30, 0x3b9c, v18
	v_fmamk_f16 v19, v31, 0xbb9c, v9
	v_fmac_f16_e32 v9, 0x3b9c, v31
	v_fmac_f16_e32 v18, 0xbb9c, v30
	v_add_f16_e32 v33, v34, v35
	v_add_f16_e32 v15, v15, v22
	v_fmac_f16_e32 v17, 0x38b4, v31
	v_fmac_f16_e32 v19, 0x38b4, v30
	;; [unrolled: 1-line block ×4, first 2 shown]
	v_add_f16_e32 v15, v15, v29
	v_fmac_f16_e32 v17, 0x34f2, v32
	v_fmac_f16_e32 v19, 0x34f2, v33
	;; [unrolled: 1-line block ×4, first 2 shown]
	ds_store_b16 v25, v15
	ds_store_b16 v25, v17 offset:32
	ds_store_b16 v25, v19 offset:64
	;; [unrolled: 1-line block ×4, first 2 shown]
	global_wb scope:SCOPE_SE
	s_wait_dscnt 0x0
	s_barrier_signal -1
	s_barrier_wait -1
	global_inv scope:SCOPE_SE
	s_and_saveexec_b32 s1, s0
	s_cbranch_execz .LBB0_17
; %bb.16:
	ds_load_u16 v15, v24
	ds_load_u16 v17, v24 offset:160
	ds_load_u16 v19, v24 offset:320
	;; [unrolled: 1-line block ×9, first 2 shown]
.LBB0_17:
	s_wait_alu 0xfffe
	s_or_b32 exec_lo, exec_lo, s1
	v_add_f16_e32 v30, v28, v27
	v_add_f16_e32 v31, v16, v23
	v_sub_f16_e32 v20, v20, v29
	v_sub_f16_e32 v29, v21, v22
	v_add_f16_e32 v21, v23, v26
	v_fma_f16 v22, -0.5, v30, v16
	v_add_f16_e32 v31, v31, v28
	v_sub_f16_e32 v30, v23, v28
	v_sub_f16_e32 v32, v26, v27
	v_fmac_f16_e32 v16, -0.5, v21
	v_fmamk_f16 v21, v20, 0xbb9c, v22
	v_sub_f16_e32 v28, v28, v23
	v_add_f16_e32 v31, v31, v27
	v_fmac_f16_e32 v22, 0x3b9c, v20
	v_fmamk_f16 v23, v29, 0x3b9c, v16
	v_sub_f16_e32 v27, v27, v26
	v_fmac_f16_e32 v16, 0xbb9c, v29
	v_fmac_f16_e32 v21, 0xb8b4, v29
	v_add_f16_e32 v30, v30, v32
	v_fmac_f16_e32 v22, 0x38b4, v29
	v_fmac_f16_e32 v23, 0xb8b4, v20
	v_add_f16_e32 v27, v28, v27
	v_fmac_f16_e32 v16, 0x38b4, v20
	v_add_f16_e32 v20, v31, v26
	v_fmac_f16_e32 v21, 0x34f2, v30
	v_fmac_f16_e32 v22, 0x34f2, v30
	;; [unrolled: 1-line block ×4, first 2 shown]
	global_wb scope:SCOPE_SE
	s_wait_dscnt 0x0
	s_barrier_signal -1
	s_barrier_wait -1
	global_inv scope:SCOPE_SE
	ds_store_b16 v25, v20
	ds_store_b16 v25, v21 offset:32
	ds_store_b16 v25, v23 offset:64
	;; [unrolled: 1-line block ×4, first 2 shown]
	global_wb scope:SCOPE_SE
	s_wait_dscnt 0x0
	s_barrier_signal -1
	s_barrier_wait -1
	global_inv scope:SCOPE_SE
	s_and_saveexec_b32 s1, s0
	s_cbranch_execnz .LBB0_20
; %bb.18:
	s_wait_alu 0xfffe
	s_or_b32 exec_lo, exec_lo, s1
	s_and_b32 s0, vcc_lo, s0
	s_wait_alu 0xfffe
	s_and_saveexec_b32 s1, s0
	s_cbranch_execnz .LBB0_21
.LBB0_19:
	s_endpgm
.LBB0_20:
	ds_load_u16 v20, v24
	ds_load_u16 v21, v24 offset:160
	ds_load_u16 v23, v24 offset:320
	;; [unrolled: 1-line block ×9, first 2 shown]
	s_wait_alu 0xfffe
	s_or_b32 exec_lo, exec_lo, s1
	s_and_b32 s0, vcc_lo, s0
	s_wait_alu 0xfffe
	s_and_saveexec_b32 s1, s0
	s_cbranch_execz .LBB0_19
.LBB0_21:
	v_add_nc_u32_e32 v55, 0xf0, v2
	v_mul_u32_u24_e32 v24, 9, v2
	v_add_nc_u32_e32 v53, 0x50, v2
	v_add_nc_u32_e32 v57, 0x1e0, v2
	v_add_co_u32 v60, vcc_lo, s10, v0
	v_mad_co_u64_u32 v[38:39], null, s8, v55, 0
	v_add_nc_u32_e32 v54, 0xa0, v2
	v_mad_co_u64_u32 v[34:35], null, s8, v53, 0
	s_wait_alu 0xfffd
	v_add_co_ci_u32_e32 v61, vcc_lo, s11, v1, vcc_lo
	s_delay_alu instid0(VALU_DEP_3)
	v_mad_co_u64_u32 v[36:37], null, s8, v54, 0
	v_lshlrev_b32_e32 v32, 2, v24
	s_clause 0x2
	global_load_b128 v[24:27], v32, s[4:5] offset:256
	global_load_b128 v[28:31], v32, s[4:5] offset:272
	global_load_b32 v59, v32, s[4:5] offset:288
	v_mad_co_u64_u32 v[32:33], null, s8, v2, 0
	v_mad_co_u64_u32 v[0:1], null, s8, v3, 0
	;; [unrolled: 1-line block ×3, first 2 shown]
	v_add_nc_u32_e32 v56, 0x140, v2
	v_add_nc_u32_e32 v58, 0x230, v2
	v_or_b32_e32 v62, 0x280, v2
	v_add_nc_u32_e32 v63, 0x2d0, v2
	v_mad_co_u64_u32 v[50:51], null, s9, v2, v[33:34]
	v_mov_b32_e32 v2, v35
	v_mad_co_u64_u32 v[40:41], null, s8, v56, 0
	v_mov_b32_e32 v33, v37
	v_mov_b32_e32 v35, v39
	s_delay_alu instid0(VALU_DEP_4)
	v_mad_co_u64_u32 v[51:52], null, s9, v3, v[1:2]
	v_mov_b32_e32 v1, v43
	v_mad_co_u64_u32 v[44:45], null, s8, v58, 0
	v_mov_b32_e32 v37, v41
	v_mad_co_u64_u32 v[46:47], null, s8, v62, 0
	v_mad_co_u64_u32 v[48:49], null, s8, v63, 0
	s_delay_alu instid0(VALU_DEP_4) | instskip(NEXT) | instid1(VALU_DEP_3)
	v_mov_b32_e32 v3, v45
	v_mov_b32_e32 v39, v47
	s_delay_alu instid0(VALU_DEP_2)
	v_mad_co_u64_u32 v[52:53], null, s9, v53, v[2:3]
	v_mad_co_u64_u32 v[53:54], null, s9, v54, v[33:34]
	v_mov_b32_e32 v33, v50
	v_mad_co_u64_u32 v[54:55], null, s9, v55, v[35:36]
	v_mad_co_u64_u32 v[55:56], null, s9, v56, v[37:38]
	;; [unrolled: 1-line block ×4, first 2 shown]
	v_mov_b32_e32 v1, v51
	v_lshlrev_b64_e32 v[32:33], 2, v[32:33]
	v_mov_b32_e32 v35, v52
	v_mov_b32_e32 v37, v53
	;; [unrolled: 1-line block ×3, first 2 shown]
	v_lshlrev_b64_e32 v[0:1], 2, v[0:1]
	v_mov_b32_e32 v45, v2
	v_lshlrev_b64_e32 v[2:3], 2, v[34:35]
	v_add_co_u32 v32, vcc_lo, v60, v32
	v_mad_co_u64_u32 v[49:50], null, s9, v62, v[39:40]
	v_mov_b32_e32 v39, v54
	s_wait_alu 0xfffd
	v_add_co_ci_u32_e32 v33, vcc_lo, v61, v33, vcc_lo
	v_lshlrev_b64_e32 v[34:35], 2, v[36:37]
	v_add_co_u32 v0, vcc_lo, v60, v0
	v_mad_co_u64_u32 v[57:58], null, s9, v63, v[41:42]
	v_mov_b32_e32 v41, v55
	s_wait_alu 0xfffd
	v_add_co_ci_u32_e32 v1, vcc_lo, v61, v1, vcc_lo
	v_lshlrev_b64_e32 v[36:37], 2, v[38:39]
	v_add_co_u32 v2, vcc_lo, v60, v2
	v_mov_b32_e32 v43, v56
	s_wait_alu 0xfffd
	v_add_co_ci_u32_e32 v3, vcc_lo, v61, v3, vcc_lo
	v_lshlrev_b64_e32 v[38:39], 2, v[40:41]
	v_add_co_u32 v34, vcc_lo, v60, v34
	s_wait_alu 0xfffd
	v_add_co_ci_u32_e32 v35, vcc_lo, v61, v35, vcc_lo
	v_lshlrev_b64_e32 v[40:41], 2, v[42:43]
	v_add_co_u32 v36, vcc_lo, v60, v36
	v_mov_b32_e32 v47, v49
	s_wait_alu 0xfffd
	v_add_co_ci_u32_e32 v37, vcc_lo, v61, v37, vcc_lo
	v_lshlrev_b64_e32 v[42:43], 2, v[44:45]
	v_add_co_u32 v38, vcc_lo, v60, v38
	v_mov_b32_e32 v49, v57
	s_wait_alu 0xfffd
	v_add_co_ci_u32_e32 v39, vcc_lo, v61, v39, vcc_lo
	v_lshlrev_b64_e32 v[44:45], 2, v[46:47]
	v_add_co_u32 v40, vcc_lo, v60, v40
	s_wait_alu 0xfffd
	v_add_co_ci_u32_e32 v41, vcc_lo, v61, v41, vcc_lo
	v_lshlrev_b64_e32 v[46:47], 2, v[48:49]
	v_add_co_u32 v42, vcc_lo, v60, v42
	s_wait_alu 0xfffd
	v_add_co_ci_u32_e32 v43, vcc_lo, v61, v43, vcc_lo
	v_add_co_u32 v44, vcc_lo, v60, v44
	s_wait_alu 0xfffd
	v_add_co_ci_u32_e32 v45, vcc_lo, v61, v45, vcc_lo
	;; [unrolled: 3-line block ×3, first 2 shown]
	s_wait_loadcnt 0x2
	v_lshrrev_b32_e32 v49, 16, v25
	v_lshrrev_b32_e32 v50, 16, v26
	;; [unrolled: 1-line block ×3, first 2 shown]
	s_wait_dscnt 0x7
	v_mul_f16_e32 v52, v23, v25
	s_wait_dscnt 0x5
	v_mul_f16_e32 v53, v22, v27
	s_wait_loadcnt 0x1
	v_lshrrev_b32_e32 v54, 16, v28
	v_lshrrev_b32_e32 v55, 16, v29
	;; [unrolled: 1-line block ×4, first 2 shown]
	s_wait_dscnt 0x1
	v_mul_f16_e32 v58, v13, v31
	v_mul_f16_e32 v60, v14, v29
	s_wait_loadcnt 0x0
	v_lshrrev_b32_e32 v61, 16, v59
	v_lshrrev_b32_e32 v48, 16, v24
	v_fmac_f16_e32 v52, v19, v49
	v_fmac_f16_e32 v53, v18, v51
	;; [unrolled: 1-line block ×4, first 2 shown]
	v_mul_f16_e32 v22, v22, v51
	v_mul_f16_e32 v14, v14, v55
	;; [unrolled: 1-line block ×6, first 2 shown]
	s_wait_dscnt 0x0
	v_mul_f16_e32 v55, v10, v61
	v_mul_f16_e32 v57, v12, v56
	;; [unrolled: 1-line block ×8, first 2 shown]
	v_fma_f16 v9, v9, v26, -v49
	v_fma_f16 v6, v6, v28, -v51
	;; [unrolled: 1-line block ×4, first 2 shown]
	v_fmac_f16_e32 v50, v16, v26
	v_fmac_f16_e32 v61, v10, v59
	;; [unrolled: 1-line block ×4, first 2 shown]
	v_sub_f16_e32 v63, v52, v53
	v_fma_f16 v18, v18, v27, -v22
	v_fma_f16 v8, v8, v29, -v14
	;; [unrolled: 1-line block ×5, first 2 shown]
	v_fmac_f16_e32 v48, v21, v24
	v_sub_f16_e32 v10, v53, v52
	v_sub_f16_e32 v11, v60, v58
	v_add_f16_e32 v12, v52, v58
	v_add_f16_e32 v16, v20, v52
	v_sub_f16_e32 v19, v52, v58
	v_sub_f16_e32 v25, v9, v6
	;; [unrolled: 1-line block ×3, first 2 shown]
	v_add_f16_e32 v27, v6, v7
	v_sub_f16_e32 v30, v50, v54
	v_sub_f16_e32 v31, v61, v56
	v_add_f16_e32 v52, v54, v56
	v_add_f16_e32 v55, v9, v4
	;; [unrolled: 1-line block ×4, first 2 shown]
	v_sub_f16_e32 v64, v58, v60
	v_sub_f16_e32 v21, v53, v60
	;; [unrolled: 1-line block ×6, first 2 shown]
	v_add_f16_e32 v10, v10, v11
	v_fma_f16 v11, -0.5, v12, v20
	v_sub_f16_e32 v12, v6, v9
	v_add_f16_e32 v16, v16, v53
	v_sub_f16_e32 v53, v14, v18
	v_sub_f16_e32 v65, v18, v14
	v_add_f16_e32 v67, v14, v5
	v_add_f16_e32 v14, v15, v14
	;; [unrolled: 1-line block ×4, first 2 shown]
	v_fma_f16 v26, -0.5, v27, v17
	v_add_f16_e32 v27, v30, v31
	v_fma_f16 v30, -0.5, v52, v48
	v_fma_f16 v17, -0.5, v55, v17
	;; [unrolled: 1-line block ×3, first 2 shown]
	v_sub_f16_e32 v49, v6, v7
	v_sub_f16_e32 v20, v7, v4
	;; [unrolled: 1-line block ×4, first 2 shown]
	v_add_f16_e32 v50, v50, v48
	v_fma_f16 v48, -0.5, v62, v48
	v_add_f16_e32 v22, v63, v64
	v_sub_f16_e32 v23, v18, v8
	v_sub_f16_e32 v63, v5, v8
	v_add_f16_e32 v64, v18, v8
	v_add_f16_e32 v14, v14, v18
	;; [unrolled: 1-line block ×3, first 2 shown]
	v_fmamk_f16 v9, v28, 0xbb9c, v26
	v_fmamk_f16 v18, v51, 0x3b9c, v30
	;; [unrolled: 1-line block ×3, first 2 shown]
	v_fmac_f16_e32 v17, 0xbb9c, v29
	v_fmac_f16_e32 v30, 0xbb9c, v51
	;; [unrolled: 1-line block ×3, first 2 shown]
	v_add_f16_e32 v12, v12, v20
	v_add_f16_e32 v20, v57, v59
	v_fmamk_f16 v57, v49, 0xbb9c, v48
	v_fmac_f16_e32 v48, 0x3b9c, v49
	v_fmamk_f16 v68, v24, 0x3b9c, v13
	v_fmac_f16_e32 v13, 0xbb9c, v24
	v_add_f16_e32 v50, v54, v50
	v_fmamk_f16 v31, v23, 0xbb9c, v11
	v_fmac_f16_e32 v11, 0x3b9c, v23
	v_add_f16_e32 v52, v53, v63
	v_fma_f16 v53, -0.5, v64, v15
	v_fmac_f16_e32 v17, 0x38b4, v28
	v_fmac_f16_e32 v30, 0xb8b4, v49
	;; [unrolled: 1-line block ×3, first 2 shown]
	v_fma_f16 v15, -0.5, v67, v15
	v_fmac_f16_e32 v48, 0xb8b4, v51
	v_sub_f16_e32 v66, v8, v5
	v_add_f16_e32 v16, v16, v60
	v_fmac_f16_e32 v68, 0x38b4, v23
	v_fmac_f16_e32 v13, 0xb8b4, v23
	v_add_f16_e32 v23, v56, v50
	v_add_f16_e32 v8, v14, v8
	;; [unrolled: 1-line block ×3, first 2 shown]
	v_fmac_f16_e32 v18, 0x38b4, v49
	v_fmac_f16_e32 v55, 0xb8b4, v28
	;; [unrolled: 1-line block ×6, first 2 shown]
	v_fmamk_f16 v24, v19, 0xbb9c, v53
	v_fmac_f16_e32 v53, 0x3b9c, v19
	v_fmac_f16_e32 v17, 0x34f2, v12
	;; [unrolled: 1-line block ×4, first 2 shown]
	v_fmamk_f16 v50, v21, 0x3b9c, v15
	v_fmac_f16_e32 v15, 0xbb9c, v21
	v_fmac_f16_e32 v48, 0x34f2, v20
	v_add_f16_e32 v16, v58, v16
	v_add_f16_e32 v7, v61, v23
	;; [unrolled: 1-line block ×4, first 2 shown]
	v_fmac_f16_e32 v18, 0x34f2, v27
	v_fmac_f16_e32 v55, 0x34f2, v12
	v_fmac_f16_e32 v57, 0x34f2, v20
	v_fmac_f16_e32 v9, 0x34f2, v25
	v_fmac_f16_e32 v24, 0xb8b4, v21
	v_fmac_f16_e32 v53, 0x38b4, v21
	v_mul_f16_e32 v12, 0xbb9c, v17
	v_mul_f16_e32 v14, 0xb8b4, v26
	;; [unrolled: 1-line block ×3, first 2 shown]
	v_add_f16_e32 v54, v65, v66
	v_fmac_f16_e32 v15, 0x38b4, v19
	v_mul_f16_e32 v20, 0x3b9c, v48
	v_fmac_f16_e32 v31, 0x34f2, v10
	v_fmac_f16_e32 v11, 0x34f2, v10
	;; [unrolled: 1-line block ×3, first 2 shown]
	v_sub_f16_e32 v6, v16, v7
	v_sub_f16_e32 v8, v5, v4
	v_add_f16_e32 v7, v16, v7
	v_add_f16_e32 v4, v5, v4
	v_mul_f16_e32 v5, 0x3a79, v18
	v_mul_f16_e32 v10, 0x34f2, v57
	;; [unrolled: 1-line block ×4, first 2 shown]
	v_fmac_f16_e32 v13, 0x34f2, v22
	v_fmac_f16_e32 v53, 0x34f2, v52
	;; [unrolled: 1-line block ×8, first 2 shown]
	v_pack_b32_f16 v4, v4, v7
	v_fma_f16 v5, v9, 0xb8b4, -v5
	v_fma_f16 v7, v55, 0xbb9c, -v10
	;; [unrolled: 1-line block ×3, first 2 shown]
	v_fmac_f16_e32 v68, 0x34f2, v22
	v_fmac_f16_e32 v24, 0x34f2, v52
	v_pack_b32_f16 v6, v8, v6
	v_fma_f16 v8, v18, 0x38b4, -v16
	v_sub_f16_e32 v16, v11, v12
	v_sub_f16_e32 v17, v13, v14
	v_add_f16_e32 v11, v11, v12
	v_add_f16_e32 v12, v13, v14
	v_add_f16_e32 v13, v53, v21
	v_add_f16_e32 v14, v15, v20
	v_sub_f16_e32 v10, v31, v7
	v_sub_f16_e32 v19, v50, v9
	v_add_f16_e32 v7, v31, v7
	v_add_f16_e32 v9, v50, v9
	global_store_b32 v[32:33], v4, off
	v_sub_f16_e32 v4, v68, v5
	v_sub_f16_e32 v18, v24, v8
	v_add_f16_e32 v5, v68, v5
	v_add_f16_e32 v8, v24, v8
	v_sub_f16_e32 v22, v15, v20
	v_sub_f16_e32 v15, v53, v21
	v_pack_b32_f16 v12, v13, v12
	v_pack_b32_f16 v11, v14, v11
	;; [unrolled: 1-line block ×8, first 2 shown]
	s_clause 0x8
	global_store_b32 v[2:3], v12, off
	global_store_b32 v[34:35], v11, off
	;; [unrolled: 1-line block ×9, first 2 shown]
	s_nop 0
	s_sendmsg sendmsg(MSG_DEALLOC_VGPRS)
	s_endpgm
	.section	.rodata,"a",@progbits
	.p2align	6, 0x0
	.amdhsa_kernel fft_rtc_fwd_len800_factors_16_5_10_wgs_160_tpt_160_halfLds_half_ip_CI_sbrr_dirReg
		.amdhsa_group_segment_fixed_size 0
		.amdhsa_private_segment_fixed_size 0
		.amdhsa_kernarg_size 88
		.amdhsa_user_sgpr_count 2
		.amdhsa_user_sgpr_dispatch_ptr 0
		.amdhsa_user_sgpr_queue_ptr 0
		.amdhsa_user_sgpr_kernarg_segment_ptr 1
		.amdhsa_user_sgpr_dispatch_id 0
		.amdhsa_user_sgpr_private_segment_size 0
		.amdhsa_wavefront_size32 1
		.amdhsa_uses_dynamic_stack 0
		.amdhsa_enable_private_segment 0
		.amdhsa_system_sgpr_workgroup_id_x 1
		.amdhsa_system_sgpr_workgroup_id_y 0
		.amdhsa_system_sgpr_workgroup_id_z 0
		.amdhsa_system_sgpr_workgroup_info 0
		.amdhsa_system_vgpr_workitem_id 0
		.amdhsa_next_free_vgpr 69
		.amdhsa_next_free_sgpr 35
		.amdhsa_reserve_vcc 1
		.amdhsa_float_round_mode_32 0
		.amdhsa_float_round_mode_16_64 0
		.amdhsa_float_denorm_mode_32 3
		.amdhsa_float_denorm_mode_16_64 3
		.amdhsa_fp16_overflow 0
		.amdhsa_workgroup_processor_mode 1
		.amdhsa_memory_ordered 1
		.amdhsa_forward_progress 0
		.amdhsa_round_robin_scheduling 0
		.amdhsa_exception_fp_ieee_invalid_op 0
		.amdhsa_exception_fp_denorm_src 0
		.amdhsa_exception_fp_ieee_div_zero 0
		.amdhsa_exception_fp_ieee_overflow 0
		.amdhsa_exception_fp_ieee_underflow 0
		.amdhsa_exception_fp_ieee_inexact 0
		.amdhsa_exception_int_div_zero 0
	.end_amdhsa_kernel
	.text
.Lfunc_end0:
	.size	fft_rtc_fwd_len800_factors_16_5_10_wgs_160_tpt_160_halfLds_half_ip_CI_sbrr_dirReg, .Lfunc_end0-fft_rtc_fwd_len800_factors_16_5_10_wgs_160_tpt_160_halfLds_half_ip_CI_sbrr_dirReg
                                        ; -- End function
	.section	.AMDGPU.csdata,"",@progbits
; Kernel info:
; codeLenInByte = 7056
; NumSgprs: 37
; NumVgprs: 69
; ScratchSize: 0
; MemoryBound: 0
; FloatMode: 240
; IeeeMode: 1
; LDSByteSize: 0 bytes/workgroup (compile time only)
; SGPRBlocks: 4
; VGPRBlocks: 8
; NumSGPRsForWavesPerEU: 37
; NumVGPRsForWavesPerEU: 69
; Occupancy: 15
; WaveLimiterHint : 1
; COMPUTE_PGM_RSRC2:SCRATCH_EN: 0
; COMPUTE_PGM_RSRC2:USER_SGPR: 2
; COMPUTE_PGM_RSRC2:TRAP_HANDLER: 0
; COMPUTE_PGM_RSRC2:TGID_X_EN: 1
; COMPUTE_PGM_RSRC2:TGID_Y_EN: 0
; COMPUTE_PGM_RSRC2:TGID_Z_EN: 0
; COMPUTE_PGM_RSRC2:TIDIG_COMP_CNT: 0
	.text
	.p2alignl 7, 3214868480
	.fill 96, 4, 3214868480
	.type	__hip_cuid_92635f0850c4d92e,@object ; @__hip_cuid_92635f0850c4d92e
	.section	.bss,"aw",@nobits
	.globl	__hip_cuid_92635f0850c4d92e
__hip_cuid_92635f0850c4d92e:
	.byte	0                               ; 0x0
	.size	__hip_cuid_92635f0850c4d92e, 1

	.ident	"AMD clang version 19.0.0git (https://github.com/RadeonOpenCompute/llvm-project roc-6.4.0 25133 c7fe45cf4b819c5991fe208aaa96edf142730f1d)"
	.section	".note.GNU-stack","",@progbits
	.addrsig
	.addrsig_sym __hip_cuid_92635f0850c4d92e
	.amdgpu_metadata
---
amdhsa.kernels:
  - .args:
      - .actual_access:  read_only
        .address_space:  global
        .offset:         0
        .size:           8
        .value_kind:     global_buffer
      - .offset:         8
        .size:           8
        .value_kind:     by_value
      - .actual_access:  read_only
        .address_space:  global
        .offset:         16
        .size:           8
        .value_kind:     global_buffer
      - .actual_access:  read_only
        .address_space:  global
        .offset:         24
        .size:           8
        .value_kind:     global_buffer
      - .offset:         32
        .size:           8
        .value_kind:     by_value
      - .actual_access:  read_only
        .address_space:  global
        .offset:         40
        .size:           8
        .value_kind:     global_buffer
      - .actual_access:  read_only
        .address_space:  global
        .offset:         48
        .size:           8
        .value_kind:     global_buffer
      - .offset:         56
        .size:           4
        .value_kind:     by_value
      - .actual_access:  read_only
        .address_space:  global
        .offset:         64
        .size:           8
        .value_kind:     global_buffer
      - .actual_access:  read_only
        .address_space:  global
        .offset:         72
        .size:           8
        .value_kind:     global_buffer
      - .address_space:  global
        .offset:         80
        .size:           8
        .value_kind:     global_buffer
    .group_segment_fixed_size: 0
    .kernarg_segment_align: 8
    .kernarg_segment_size: 88
    .language:       OpenCL C
    .language_version:
      - 2
      - 0
    .max_flat_workgroup_size: 160
    .name:           fft_rtc_fwd_len800_factors_16_5_10_wgs_160_tpt_160_halfLds_half_ip_CI_sbrr_dirReg
    .private_segment_fixed_size: 0
    .sgpr_count:     37
    .sgpr_spill_count: 0
    .symbol:         fft_rtc_fwd_len800_factors_16_5_10_wgs_160_tpt_160_halfLds_half_ip_CI_sbrr_dirReg.kd
    .uniform_work_group_size: 1
    .uses_dynamic_stack: false
    .vgpr_count:     69
    .vgpr_spill_count: 0
    .wavefront_size: 32
    .workgroup_processor_mode: 1
amdhsa.target:   amdgcn-amd-amdhsa--gfx1201
amdhsa.version:
  - 1
  - 2
...

	.end_amdgpu_metadata
